;; amdgpu-corpus repo=ROCm/rocFFT kind=compiled arch=gfx1201 opt=O3
	.text
	.amdgcn_target "amdgcn-amd-amdhsa--gfx1201"
	.amdhsa_code_object_version 6
	.protected	bluestein_single_fwd_len980_dim1_sp_op_CI_CI ; -- Begin function bluestein_single_fwd_len980_dim1_sp_op_CI_CI
	.globl	bluestein_single_fwd_len980_dim1_sp_op_CI_CI
	.p2align	8
	.type	bluestein_single_fwd_len980_dim1_sp_op_CI_CI,@function
bluestein_single_fwd_len980_dim1_sp_op_CI_CI: ; @bluestein_single_fwd_len980_dim1_sp_op_CI_CI
; %bb.0:
	s_load_b128 s[8:11], s[0:1], 0x28
	v_mul_u32_u24_e32 v1, 0x14f, v0
	s_mov_b32 s2, exec_lo
	v_mov_b32_e32 v45, 0
	s_delay_alu instid0(VALU_DEP_2) | instskip(NEXT) | instid1(VALU_DEP_1)
	v_lshrrev_b32_e32 v1, 16, v1
	v_add_nc_u32_e32 v44, ttmp9, v1
	s_wait_kmcnt 0x0
	s_delay_alu instid0(VALU_DEP_1)
	v_cmpx_gt_u64_e64 s[8:9], v[44:45]
	s_cbranch_execz .LBB0_31
; %bb.1:
	s_clause 0x1
	s_load_b64 s[12:13], s[0:1], 0x0
	s_load_b64 s[8:9], s[0:1], 0x38
	v_mul_lo_u16 v1, 0xc4, v1
	s_delay_alu instid0(VALU_DEP_1) | instskip(NEXT) | instid1(VALU_DEP_1)
	v_sub_nc_u16 v0, v0, v1
	v_and_b32_e32 v49, 0xffff, v0
	v_cmp_gt_u16_e32 vcc_lo, 0x8c, v0
	s_delay_alu instid0(VALU_DEP_2)
	v_lshlrev_b32_e32 v50, 3, v49
	s_and_saveexec_b32 s3, vcc_lo
	s_cbranch_execz .LBB0_3
; %bb.2:
	s_load_b64 s[4:5], s[0:1], 0x18
	s_delay_alu instid0(VALU_DEP_1)
	v_add_nc_u32_e32 v30, 0x800, v50
	v_add_nc_u32_e32 v31, 0x1000, v50
	s_wait_kmcnt 0x0
	s_load_b128 s[4:7], s[4:5], 0x0
	s_wait_kmcnt 0x0
	v_mad_co_u64_u32 v[0:1], null, s6, v44, 0
	v_mad_co_u64_u32 v[2:3], null, s4, v49, 0
	s_delay_alu instid0(VALU_DEP_1) | instskip(NEXT) | instid1(VALU_DEP_1)
	v_mad_co_u64_u32 v[4:5], null, s7, v44, v[1:2]
	v_mad_co_u64_u32 v[5:6], null, s5, v49, v[3:4]
	v_mov_b32_e32 v1, v4
	s_mul_u64 s[4:5], s[4:5], 0x460
	s_delay_alu instid0(VALU_DEP_1) | instskip(NEXT) | instid1(VALU_DEP_3)
	v_lshlrev_b64_e32 v[0:1], 3, v[0:1]
	v_mov_b32_e32 v3, v5
	s_delay_alu instid0(VALU_DEP_1) | instskip(NEXT) | instid1(VALU_DEP_3)
	v_lshlrev_b64_e32 v[2:3], 3, v[2:3]
	v_add_co_u32 v10, s2, s10, v0
	s_delay_alu instid0(VALU_DEP_1)
	v_add_co_ci_u32_e64 v11, s2, s11, v1, s2
	s_clause 0x3
	global_load_b64 v[0:1], v50, s[12:13]
	global_load_b64 v[4:5], v50, s[12:13] offset:1120
	global_load_b64 v[6:7], v50, s[12:13] offset:2240
	;; [unrolled: 1-line block ×3, first 2 shown]
	v_add_co_u32 v2, s2, v10, v2
	s_wait_alu 0xf1ff
	v_add_co_ci_u32_e64 v3, s2, v11, v3, s2
	global_load_b64 v[12:13], v50, s[12:13] offset:4480
	s_wait_alu 0xfffe
	v_add_co_u32 v10, s2, v2, s4
	s_wait_alu 0xf1ff
	v_add_co_ci_u32_e64 v11, s2, s5, v3, s2
	global_load_b64 v[2:3], v[2:3], off
	v_add_co_u32 v14, s2, v10, s4
	s_wait_alu 0xf1ff
	v_add_co_ci_u32_e64 v15, s2, s5, v11, s2
	global_load_b64 v[10:11], v[10:11], off
	v_add_co_u32 v16, s2, v14, s4
	s_wait_alu 0xf1ff
	v_add_co_ci_u32_e64 v17, s2, s5, v15, s2
	s_delay_alu instid0(VALU_DEP_2) | instskip(SKIP_1) | instid1(VALU_DEP_2)
	v_add_co_u32 v18, s2, v16, s4
	s_wait_alu 0xf1ff
	v_add_co_ci_u32_e64 v19, s2, s5, v17, s2
	s_clause 0x1
	global_load_b64 v[14:15], v[14:15], off
	global_load_b64 v[16:17], v[16:17], off
	v_add_co_u32 v20, s2, v18, s4
	s_wait_alu 0xf1ff
	v_add_co_ci_u32_e64 v21, s2, s5, v19, s2
	global_load_b64 v[18:19], v[18:19], off
	v_add_co_u32 v22, s2, v20, s4
	s_wait_alu 0xf1ff
	v_add_co_ci_u32_e64 v23, s2, s5, v21, s2
	global_load_b64 v[20:21], v[20:21], off
	s_clause 0x1
	global_load_b64 v[24:25], v50, s[12:13] offset:5600
	global_load_b64 v[26:27], v50, s[12:13] offset:6720
	global_load_b64 v[22:23], v[22:23], off
	s_wait_loadcnt 0x8
	v_mul_f32_e32 v28, v3, v1
	v_mul_f32_e32 v29, v2, v1
	s_wait_loadcnt 0x7
	v_mul_f32_e32 v1, v11, v5
	v_mul_f32_e32 v5, v10, v5
	v_fmac_f32_e32 v28, v2, v0
	v_fma_f32 v29, v3, v0, -v29
	s_delay_alu instid0(VALU_DEP_3)
	v_fma_f32 v2, v11, v4, -v5
	s_wait_loadcnt 0x6
	v_mul_f32_e32 v0, v14, v7
	v_mul_f32_e32 v3, v15, v7
	s_wait_loadcnt 0x5
	v_mul_f32_e32 v5, v17, v9
	v_mul_f32_e32 v9, v16, v9
	v_fmac_f32_e32 v1, v10, v4
	v_fma_f32 v4, v15, v6, -v0
	s_wait_loadcnt 0x4
	v_mul_f32_e32 v7, v19, v13
	v_mul_f32_e32 v0, v18, v13
	s_wait_loadcnt 0x2
	v_dual_fmac_f32 v3, v14, v6 :: v_dual_mul_f32 v10, v20, v25
	v_fma_f32 v6, v17, v8, -v9
	v_mul_f32_e32 v9, v21, v25
	s_wait_loadcnt 0x0
	v_mul_f32_e32 v11, v23, v27
	v_mul_f32_e32 v13, v22, v27
	v_fmac_f32_e32 v5, v16, v8
	v_fmac_f32_e32 v7, v18, v12
	v_fma_f32 v8, v19, v12, -v0
	v_fmac_f32_e32 v9, v20, v24
	v_fma_f32 v10, v21, v24, -v10
	;; [unrolled: 2-line block ×3, first 2 shown]
	ds_store_2addr_b64 v50, v[28:29], v[1:2] offset1:140
	ds_store_2addr_b64 v30, v[3:4], v[5:6] offset0:24 offset1:164
	ds_store_2addr_b64 v31, v[7:8], v[9:10] offset0:48 offset1:188
	ds_store_b64 v50, v[11:12] offset:6720
.LBB0_3:
	s_or_b32 exec_lo, exec_lo, s3
	s_clause 0x1
	s_load_b64 s[4:5], s[0:1], 0x20
	s_load_b64 s[2:3], s[0:1], 0x8
	v_mov_b32_e32 v2, 0
	v_mov_b32_e32 v3, 0
	s_delay_alu instid0(VALU_DEP_2)
	v_mov_b32_e32 v0, v2
	global_wb scope:SCOPE_SE
	s_wait_dscnt 0x0
	s_wait_kmcnt 0x0
	s_barrier_signal -1
	s_barrier_wait -1
	v_mov_b32_e32 v1, v3
	v_dual_mov_b32 v5, v3 :: v_dual_mov_b32 v4, v2
	v_dual_mov_b32 v9, v3 :: v_dual_mov_b32 v8, v2
	global_inv scope:SCOPE_SE
                                        ; implicit-def: $vgpr12
	s_and_saveexec_b32 s0, vcc_lo
	s_cbranch_execz .LBB0_5
; %bb.4:
	v_add_nc_u32_e32 v4, 0x800, v50
	v_add_nc_u32_e32 v8, 0x1000, v50
	ds_load_2addr_b64 v[0:3], v50 offset1:140
	ds_load_2addr_b64 v[4:7], v4 offset0:24 offset1:164
	ds_load_2addr_b64 v[8:11], v8 offset0:48 offset1:188
	ds_load_b64 v[12:13], v50 offset:6720
.LBB0_5:
	s_wait_alu 0xfffe
	s_or_b32 exec_lo, exec_lo, s0
	s_wait_dscnt 0x0
	v_dual_add_f32 v14, v12, v2 :: v_dual_add_f32 v15, v13, v3
	v_dual_add_f32 v16, v10, v4 :: v_dual_add_f32 v17, v11, v5
	v_dual_sub_f32 v12, v2, v12 :: v_dual_sub_f32 v13, v3, v13
	v_dual_sub_f32 v4, v4, v10 :: v_dual_sub_f32 v5, v5, v11
	v_dual_add_f32 v10, v6, v8 :: v_dual_add_f32 v11, v7, v9
	v_dual_sub_f32 v6, v8, v6 :: v_dual_sub_f32 v7, v9, v7
	v_dual_add_f32 v8, v14, v16 :: v_dual_add_f32 v9, v15, v17
	v_dual_sub_f32 v2, v16, v14 :: v_dual_sub_f32 v3, v17, v15
	s_delay_alu instid0(VALU_DEP_4) | instskip(SKIP_4) | instid1(VALU_DEP_3)
	v_dual_sub_f32 v18, v14, v10 :: v_dual_sub_f32 v19, v15, v11
	v_dual_sub_f32 v16, v10, v16 :: v_dual_sub_f32 v17, v11, v17
	v_dual_add_f32 v14, v4, v6 :: v_dual_add_f32 v15, v5, v7
	v_sub_f32_e32 v23, v7, v5
	v_dual_sub_f32 v7, v13, v7 :: v_dual_add_f32 v8, v8, v10
	v_dual_add_f32 v9, v9, v11 :: v_dual_add_f32 v14, v12, v14
	v_dual_sub_f32 v21, v6, v4 :: v_dual_sub_f32 v6, v12, v6
	v_dual_sub_f32 v4, v4, v12 :: v_dual_sub_f32 v5, v5, v13
	s_delay_alu instid0(VALU_DEP_4) | instskip(NEXT) | instid1(VALU_DEP_4)
	v_dual_add_f32 v0, v8, v0 :: v_dual_add_f32 v15, v13, v15
	v_dual_mul_f32 v10, 0x3d64c772, v16 :: v_dual_add_f32 v1, v9, v1
	v_mul_f32_e32 v16, 0xbf08b237, v23
	v_mul_f32_e32 v11, 0x3f4a47b2, v18
	;; [unrolled: 1-line block ×4, first 2 shown]
	v_fmamk_f32 v12, v8, 0xbf955555, v0
	v_fmamk_f32 v8, v18, 0x3f4a47b2, v10
	v_mul_f32_e32 v20, 0x3d64c772, v17
	v_fmamk_f32 v17, v9, 0xbf955555, v1
	v_mul_f32_e32 v21, 0x3f5ff5aa, v5
	v_fmamk_f32 v4, v6, 0x3eae86e6, v22
	v_fmamk_f32 v5, v7, 0x3eae86e6, v16
	v_fma_f32 v9, 0xbeae86e6, v6, -v23
	v_mul_lo_u16 v53, v49, 7
	v_fma_f32 v6, 0xbeae86e6, v7, -v21
	v_add_f32_e32 v7, v8, v12
	v_dual_mul_f32 v13, 0x3f4a47b2, v19 :: v_dual_fmamk_f32 v18, v19, 0x3f4a47b2, v20
	v_fma_f32 v19, 0xbf3bfb3b, v2, -v11
	s_delay_alu instid0(VALU_DEP_4)
	v_fmac_f32_e32 v6, 0x3ee1c552, v15
	global_wb scope:SCOPE_SE
	v_fma_f32 v13, 0xbf3bfb3b, v3, -v13
	v_dual_add_f32 v11, v18, v17 :: v_dual_add_f32 v8, v19, v12
	s_barrier_signal -1
	s_barrier_wait -1
	s_delay_alu instid0(VALU_DEP_2)
	v_add_f32_e32 v13, v13, v17
	v_dual_fmac_f32 v5, 0x3ee1c552, v15 :: v_dual_fmac_f32 v4, 0x3ee1c552, v14
	v_fmac_f32_e32 v9, 0x3ee1c552, v14
	v_sub_f32_e32 v18, v8, v6
	global_inv scope:SCOPE_SE
	v_dual_sub_f32 v32, v7, v5 :: v_dual_add_f32 v33, v4, v11
	v_add_f32_e32 v19, v9, v13
	s_and_saveexec_b32 s0, vcc_lo
	s_cbranch_execz .LBB0_7
; %bb.6:
	v_dual_mul_f32 v3, 0x3f3bfb3b, v3 :: v_dual_mul_f32 v2, 0x3f3bfb3b, v2
	v_dual_mul_f32 v14, 0x3ee1c552, v14 :: v_dual_mul_f32 v15, 0x3ee1c552, v15
	v_dual_sub_f32 v22, v23, v22 :: v_dual_sub_f32 v9, v13, v9
	s_delay_alu instid0(VALU_DEP_3) | instskip(NEXT) | instid1(VALU_DEP_2)
	v_dual_sub_f32 v3, v3, v20 :: v_dual_sub_f32 v2, v2, v10
	v_dual_sub_f32 v11, v11, v4 :: v_dual_add_f32 v10, v22, v14
	v_add_f32_e32 v8, v8, v6
	s_delay_alu instid0(VALU_DEP_3) | instskip(SKIP_2) | instid1(VALU_DEP_3)
	v_add_f32_e32 v14, v3, v17
	v_sub_f32_e32 v16, v21, v16
	v_add_f32_e32 v2, v2, v12
	v_dual_sub_f32 v3, v14, v10 :: v_dual_and_b32 v12, 0xffff, v53
	s_delay_alu instid0(VALU_DEP_3) | instskip(SKIP_1) | instid1(VALU_DEP_3)
	v_dual_add_f32 v16, v16, v15 :: v_dual_add_f32 v15, v10, v14
	v_add_f32_e32 v10, v7, v5
	v_lshlrev_b32_e32 v4, 3, v12
	s_delay_alu instid0(VALU_DEP_3)
	v_sub_f32_e32 v14, v2, v16
	v_add_f32_e32 v2, v2, v16
	ds_store_2addr_b64 v4, v[0:1], v[10:11] offset1:1
	ds_store_2addr_b64 v4, v[8:9], v[14:15] offset0:2 offset1:3
	ds_store_2addr_b64 v4, v[2:3], v[18:19] offset0:4 offset1:5
	ds_store_b64 v4, v[32:33] offset:48
.LBB0_7:
	s_wait_alu 0xfffe
	s_or_b32 exec_lo, exec_lo, s0
	v_and_b32_e32 v8, 0xff, v49
	s_load_b128 s[4:7], s[4:5], 0x0
	global_wb scope:SCOPE_SE
	s_wait_dscnt 0x0
	s_wait_kmcnt 0x0
	s_barrier_signal -1
	s_barrier_wait -1
	v_mul_lo_u16 v0, v8, 37
	global_inv scope:SCOPE_SE
	v_lshrrev_b16 v0, 8, v0
	s_delay_alu instid0(VALU_DEP_1) | instskip(NEXT) | instid1(VALU_DEP_1)
	v_sub_nc_u16 v1, v49, v0
	v_lshrrev_b16 v1, 1, v1
	s_delay_alu instid0(VALU_DEP_1) | instskip(NEXT) | instid1(VALU_DEP_1)
	v_and_b32_e32 v1, 0x7f, v1
	v_add_nc_u16 v0, v1, v0
	s_delay_alu instid0(VALU_DEP_1) | instskip(NEXT) | instid1(VALU_DEP_1)
	v_lshrrev_b16 v17, 2, v0
	v_mul_lo_u16 v0, v17, 7
	s_delay_alu instid0(VALU_DEP_1) | instskip(NEXT) | instid1(VALU_DEP_1)
	v_sub_nc_u16 v0, v49, v0
	v_and_b32_e32 v22, 0xff, v0
	s_delay_alu instid0(VALU_DEP_1)
	v_lshlrev_b32_e32 v0, 5, v22
	s_clause 0x1
	global_load_b128 v[4:7], v0, s[2:3]
	global_load_b128 v[0:3], v0, s[2:3] offset:16
	v_add_nc_u32_e32 v13, 0xc00, v50
	ds_load_2addr_b64 v[9:12], v50 offset1:196
	ds_load_2addr_b64 v[13:16], v13 offset0:8 offset1:204
	ds_load_b64 v[20:21], v50 offset:6272
	v_and_b32_e32 v17, 0xffff, v17
	global_wb scope:SCOPE_SE
	s_wait_loadcnt_dscnt 0x0
	s_barrier_signal -1
	s_barrier_wait -1
	global_inv scope:SCOPE_SE
	v_mul_f32_e32 v23, v14, v7
	v_mul_f32_e32 v26, v21, v3
	v_mul_u32_u24_e32 v17, 35, v17
	v_dual_mul_f32 v24, v13, v7 :: v_dual_mul_f32 v25, v16, v1
	v_dual_mul_f32 v27, v15, v1 :: v_dual_mul_f32 v34, v20, v3
	s_delay_alu instid0(VALU_DEP_3) | instskip(SKIP_2) | instid1(VALU_DEP_4)
	v_add_lshl_u32 v52, v17, v22, 3
	v_mul_f32_e32 v17, v12, v5
	v_mul_f32_e32 v22, v11, v5
	v_dual_fmac_f32 v24, v14, v6 :: v_dual_fmac_f32 v27, v16, v0
	v_fmac_f32_e32 v34, v21, v2
	s_delay_alu instid0(VALU_DEP_4) | instskip(NEXT) | instid1(VALU_DEP_4)
	v_fma_f32 v11, v11, v4, -v17
	v_fmac_f32_e32 v22, v12, v4
	v_fma_f32 v12, v13, v6, -v23
	v_fma_f32 v13, v15, v0, -v25
	;; [unrolled: 1-line block ×3, first 2 shown]
	v_add_f32_e32 v15, v9, v11
	v_dual_sub_f32 v21, v24, v27 :: v_dual_sub_f32 v20, v22, v34
	v_add_f32_e32 v31, v24, v27
	v_dual_add_f32 v16, v12, v13 :: v_dual_sub_f32 v17, v11, v12
	v_dual_sub_f32 v23, v14, v13 :: v_dual_sub_f32 v26, v12, v11
	v_dual_add_f32 v25, v11, v14 :: v_dual_sub_f32 v36, v22, v24
	v_dual_sub_f32 v28, v13, v14 :: v_dual_sub_f32 v35, v12, v13
	v_dual_add_f32 v29, v10, v22 :: v_dual_add_f32 v12, v15, v12
	s_delay_alu instid0(VALU_DEP_4) | instskip(SKIP_2) | instid1(VALU_DEP_4)
	v_dual_add_f32 v38, v22, v34 :: v_dual_add_f32 v15, v17, v23
	v_dual_sub_f32 v37, v34, v27 :: v_dual_sub_f32 v22, v24, v22
	v_sub_f32_e32 v11, v11, v14
	v_dual_sub_f32 v39, v27, v34 :: v_dual_add_f32 v12, v12, v13
	v_fma_f32 v16, -0.5, v16, v9
	v_fma_f32 v30, -0.5, v25, v9
	v_add_f32_e32 v23, v29, v24
	v_fma_f32 v17, -0.5, v31, v10
	v_fma_f32 v31, -0.5, v38, v10
	v_add_f32_e32 v10, v22, v39
	v_dual_add_f32 v9, v26, v28 :: v_dual_fmamk_f32 v26, v20, 0x3f737871, v16
	v_add_f32_e32 v36, v36, v37
	v_dual_fmac_f32 v16, 0xbf737871, v20 :: v_dual_add_f32 v13, v23, v27
	v_dual_fmamk_f32 v28, v21, 0xbf737871, v30 :: v_dual_fmamk_f32 v27, v11, 0xbf737871, v17
	v_dual_fmac_f32 v30, 0x3f737871, v21 :: v_dual_fmac_f32 v17, 0x3f737871, v11
	v_dual_fmamk_f32 v29, v35, 0x3f737871, v31 :: v_dual_add_f32 v24, v12, v14
	v_fmac_f32_e32 v31, 0xbf737871, v35
	v_dual_fmac_f32 v26, 0x3f167918, v21 :: v_dual_add_f32 v25, v13, v34
	v_dual_fmac_f32 v16, 0xbf167918, v21 :: v_dual_fmac_f32 v27, 0xbf167918, v35
	v_dual_fmac_f32 v28, 0x3f167918, v20 :: v_dual_fmac_f32 v17, 0x3f167918, v35
	;; [unrolled: 1-line block ×3, first 2 shown]
	v_fmac_f32_e32 v31, 0x3f167918, v11
	s_delay_alu instid0(VALU_DEP_4) | instskip(NEXT) | instid1(VALU_DEP_3)
	v_dual_fmac_f32 v26, 0x3e9e377a, v15 :: v_dual_fmac_f32 v27, 0x3e9e377a, v36
	v_dual_fmac_f32 v16, 0x3e9e377a, v15 :: v_dual_fmac_f32 v29, 0x3e9e377a, v10
	s_delay_alu instid0(VALU_DEP_3)
	v_dual_fmac_f32 v28, 0x3e9e377a, v9 :: v_dual_fmac_f32 v31, 0x3e9e377a, v10
	v_dual_fmac_f32 v30, 0x3e9e377a, v9 :: v_dual_fmac_f32 v17, 0x3e9e377a, v36
	ds_store_2addr_b64 v52, v[24:25], v[26:27] offset1:7
	ds_store_2addr_b64 v52, v[28:29], v[30:31] offset0:14 offset1:21
	ds_store_b64 v52, v[16:17] offset:224
	global_wb scope:SCOPE_SE
	s_wait_dscnt 0x0
	s_barrier_signal -1
	s_barrier_wait -1
	global_inv scope:SCOPE_SE
	s_and_saveexec_b32 s0, vcc_lo
	s_cbranch_execz .LBB0_9
; %bb.8:
	v_add_nc_u32_e32 v9, 0x800, v50
	v_add_nc_u32_e32 v10, 0x1000, v50
	ds_load_2addr_b64 v[24:27], v50 offset1:140
	ds_load_2addr_b64 v[28:31], v9 offset0:24 offset1:164
	ds_load_2addr_b64 v[16:19], v10 offset0:48 offset1:188
	ds_load_b64 v[32:33], v50 offset:6720
.LBB0_9:
	s_wait_alu 0xfffe
	s_or_b32 exec_lo, exec_lo, s0
	v_mul_lo_u16 v8, 0xeb, v8
	s_delay_alu instid0(VALU_DEP_1) | instskip(NEXT) | instid1(VALU_DEP_1)
	v_lshrrev_b16 v40, 13, v8
	v_mul_lo_u16 v8, v40, 35
	v_and_b32_e32 v54, 0xffff, v40
	s_delay_alu instid0(VALU_DEP_2) | instskip(NEXT) | instid1(VALU_DEP_1)
	v_sub_nc_u16 v8, v49, v8
	v_and_b32_e32 v51, 0xff, v8
	s_delay_alu instid0(VALU_DEP_1)
	v_mad_co_u64_u32 v[8:9], null, v51, 48, s[2:3]
	s_clause 0x2
	global_load_b128 v[20:23], v[8:9], off offset:224
	global_load_b128 v[12:15], v[8:9], off offset:240
	;; [unrolled: 1-line block ×3, first 2 shown]
	global_wb scope:SCOPE_SE
	s_wait_loadcnt_dscnt 0x0
	s_barrier_signal -1
	s_barrier_wait -1
	global_inv scope:SCOPE_SE
	v_mul_f32_e32 v34, v27, v21
	v_dual_mul_f32 v35, v26, v21 :: v_dual_mul_f32 v36, v29, v23
	v_dual_mul_f32 v37, v28, v23 :: v_dual_mul_f32 v38, v31, v13
	;; [unrolled: 1-line block ×4, first 2 shown]
	v_mul_f32_e32 v45, v18, v9
	v_fma_f32 v26, v26, v20, -v34
	s_delay_alu instid0(VALU_DEP_4)
	v_dual_fmac_f32 v42, v17, v14 :: v_dual_fmac_f32 v39, v31, v12
	v_fmac_f32_e32 v35, v27, v20
	v_fma_f32 v27, v28, v22, -v36
	v_fmac_f32_e32 v37, v29, v22
	v_fma_f32 v29, v32, v10, -v46
	v_mul_f32_e32 v41, v17, v15
	v_fma_f32 v17, v18, v8, -v43
	v_mul_f32_e32 v47, v32, v11
	v_fma_f32 v28, v30, v12, -v38
	v_add_f32_e32 v18, v26, v29
	v_sub_f32_e32 v26, v26, v29
	v_fma_f32 v16, v16, v14, -v41
	v_add_f32_e32 v30, v27, v17
	v_fmac_f32_e32 v45, v19, v8
	s_delay_alu instid0(VALU_DEP_3) | instskip(SKIP_1) | instid1(VALU_DEP_4)
	v_dual_fmac_f32 v47, v33, v10 :: v_dual_add_f32 v32, v28, v16
	v_sub_f32_e32 v16, v16, v28
	v_add_f32_e32 v34, v30, v18
	v_dual_sub_f32 v28, v42, v39 :: v_dual_sub_f32 v17, v27, v17
	v_dual_sub_f32 v36, v30, v18 :: v_dual_add_f32 v31, v37, v45
	v_sub_f32_e32 v27, v37, v45
	v_dual_add_f32 v19, v35, v47 :: v_dual_sub_f32 v18, v18, v32
	v_dual_sub_f32 v29, v35, v47 :: v_dual_sub_f32 v30, v32, v30
	v_add_f32_e32 v33, v39, v42
	v_add_f32_e32 v32, v32, v34
	v_sub_f32_e32 v42, v28, v27
	v_dual_add_f32 v38, v16, v17 :: v_dual_add_f32 v35, v31, v19
	v_sub_f32_e32 v37, v31, v19
	v_dual_sub_f32 v19, v19, v33 :: v_dual_mul_f32 v18, 0x3f4a47b2, v18
	v_dual_sub_f32 v31, v33, v31 :: v_dual_sub_f32 v46, v27, v29
	v_add_f32_e32 v39, v28, v27
	v_sub_f32_e32 v43, v26, v16
	v_sub_f32_e32 v45, v17, v26
	v_add_f32_e32 v34, v38, v26
	v_dual_mul_f32 v26, 0x3d64c772, v30 :: v_dual_sub_f32 v41, v16, v17
	v_mul_f32_e32 v38, 0xbf08b237, v42
	v_sub_f32_e32 v28, v29, v28
	v_dual_add_f32 v33, v33, v35 :: v_dual_fmamk_f32 v30, v30, 0x3d64c772, v18
	v_mul_f32_e32 v19, 0x3f4a47b2, v19
	v_fma_f32 v42, 0x3f3bfb3b, v36, -v26
	v_dual_mul_f32 v27, 0x3d64c772, v31 :: v_dual_add_f32 v16, v24, v32
	v_fma_f32 v48, 0xbf3bfb3b, v36, -v18
	s_delay_alu instid0(VALU_DEP_4) | instskip(NEXT) | instid1(VALU_DEP_3)
	v_fmamk_f32 v31, v31, 0x3d64c772, v19
	v_fma_f32 v47, 0x3f3bfb3b, v37, -v27
	v_fma_f32 v37, 0xbf3bfb3b, v37, -v19
	v_mul_f32_e32 v35, 0xbf08b237, v41
	v_mul_f32_e32 v41, 0x3f5ff5aa, v46
	v_fmamk_f32 v19, v28, 0x3eae86e6, v38
	s_delay_alu instid0(VALU_DEP_2) | instskip(SKIP_3) | instid1(VALU_DEP_3)
	v_fma_f32 v24, 0xbeae86e6, v28, -v41
	v_dual_fmamk_f32 v28, v32, 0xbf955555, v16 :: v_dual_add_f32 v17, v25, v33
	v_add_f32_e32 v29, v39, v29
	v_fma_f32 v25, 0x3f5ff5aa, v46, -v38
	v_add_f32_e32 v36, v42, v28
	s_delay_alu instid0(VALU_DEP_4) | instskip(NEXT) | instid1(VALU_DEP_4)
	v_fmamk_f32 v32, v33, 0xbf955555, v17
	v_fmac_f32_e32 v19, 0x3ee1c552, v29
	s_delay_alu instid0(VALU_DEP_4)
	v_fmac_f32_e32 v25, 0x3ee1c552, v29
	v_mul_f32_e32 v39, 0x3f5ff5aa, v45
	v_fmac_f32_e32 v24, 0x3ee1c552, v29
	v_add_f32_e32 v38, v37, v32
	v_fmamk_f32 v18, v43, 0x3eae86e6, v35
	v_fma_f32 v27, 0x3f5ff5aa, v45, -v35
	v_fma_f32 v26, 0xbeae86e6, v43, -v39
	v_add_f32_e32 v39, v47, v32
	s_delay_alu instid0(VALU_DEP_4) | instskip(NEXT) | instid1(VALU_DEP_4)
	v_dual_add_f32 v35, v48, v28 :: v_dual_fmac_f32 v18, 0x3ee1c552, v34
	v_fmac_f32_e32 v27, 0x3ee1c552, v34
	s_delay_alu instid0(VALU_DEP_4) | instskip(SKIP_2) | instid1(VALU_DEP_4)
	v_fmac_f32_e32 v26, 0x3ee1c552, v34
	v_add_f32_e32 v34, v30, v28
	v_add_f32_e32 v37, v31, v32
	v_dual_add_f32 v28, v25, v36 :: v_dual_sub_f32 v29, v39, v27
	s_delay_alu instid0(VALU_DEP_4) | instskip(NEXT) | instid1(VALU_DEP_4)
	v_dual_sub_f32 v30, v35, v24 :: v_dual_add_f32 v31, v26, v38
	v_sub_f32_e32 v32, v34, v19
	s_delay_alu instid0(VALU_DEP_4)
	v_add_f32_e32 v33, v18, v37
	s_and_saveexec_b32 s0, vcc_lo
	s_cbranch_execz .LBB0_11
; %bb.10:
	v_mul_u32_u24_e32 v41, 0xf5, v54
	v_dual_add_f32 v40, v27, v39 :: v_dual_sub_f32 v39, v36, v25
	v_dual_sub_f32 v25, v38, v26 :: v_dual_add_f32 v24, v24, v35
	v_sub_f32_e32 v27, v37, v18
	v_add_f32_e32 v26, v19, v34
	v_add_lshl_u32 v18, v41, v51, 3
	ds_store_2addr_b64 v18, v[16:17], v[26:27] offset1:35
	ds_store_2addr_b64 v18, v[24:25], v[39:40] offset0:70 offset1:105
	ds_store_2addr_b64 v18, v[28:29], v[30:31] offset0:140 offset1:175
	ds_store_b64 v18, v[32:33] offset:1680
.LBB0_11:
	s_wait_alu 0xfffe
	s_or_b32 exec_lo, exec_lo, s0
	v_add_nc_u32_e32 v55, 0xf00, v50
	global_wb scope:SCOPE_SE
	s_wait_dscnt 0x0
	s_barrier_signal -1
	s_barrier_wait -1
	global_inv scope:SCOPE_SE
	ds_load_2addr_b64 v[36:39], v50 offset1:245
	ds_load_2addr_b64 v[40:43], v55 offset0:10 offset1:255
	v_cmp_gt_u16_e64 s0, 49, v49
	s_delay_alu instid0(VALU_DEP_1)
	s_and_saveexec_b32 s1, s0
	s_cbranch_execz .LBB0_13
; %bb.12:
	v_add_nc_u32_e32 v16, 0x600, v50
	v_add_nc_u32_e32 v17, 0x1540, v50
	ds_load_2addr_b64 v[28:31], v16 offset0:4 offset1:249
	ds_load_2addr_b64 v[32:35], v17 offset0:6 offset1:251
.LBB0_13:
	s_wait_alu 0xfffe
	s_or_b32 exec_lo, exec_lo, s1
	v_mad_co_u64_u32 v[16:17], null, v49, 24, s[2:3]
	v_subrev_nc_u32_e32 v19, 49, v49
	s_clause 0x1
	global_load_b128 v[24:27], v[16:17], off offset:1904
	global_load_b64 v[47:48], v[16:17], off offset:1920
	s_wait_loadcnt_dscnt 0x100
	v_dual_mul_f32 v59, v40, v27 :: v_dual_add_nc_u32 v18, 0xc4, v49
	s_delay_alu instid0(VALU_DEP_1) | instskip(SKIP_3) | instid1(VALU_DEP_3)
	v_cndmask_b32_e64 v18, v19, v18, s0
	s_wait_loadcnt 0x0
	v_dual_mul_f32 v56, v39, v25 :: v_dual_mul_f32 v61, v42, v48
	v_dual_mul_f32 v57, v38, v25 :: v_dual_mul_f32 v58, v41, v27
	v_mul_i32_i24_e32 v16, 24, v18
	v_mul_hi_i32_i24_e32 v17, 24, v18
	v_dual_mul_f32 v60, v43, v48 :: v_dual_fmac_f32 v59, v41, v26
	v_fma_f32 v38, v38, v24, -v56
	s_delay_alu instid0(VALU_DEP_4)
	v_add_co_u32 v45, s1, s2, v16
	s_wait_alu 0xf1ff
	v_add_co_ci_u32_e64 v46, s1, s3, v17, s1
	v_fmac_f32_e32 v57, v39, v24
	v_fma_f32 v39, v40, v26, -v58
	s_clause 0x1
	global_load_b128 v[16:19], v[45:46], off offset:1904
	global_load_b64 v[45:46], v[45:46], off offset:1920
	v_fma_f32 v40, v42, v47, -v60
	v_sub_f32_e32 v42, v37, v59
	v_fmac_f32_e32 v61, v43, v47
	s_delay_alu instid0(VALU_DEP_2)
	v_fma_f32 v63, v37, 2.0, -v42
	s_wait_loadcnt 0x1
	v_dual_mul_f32 v56, v30, v17 :: v_dual_sub_f32 v41, v36, v39
	v_dual_sub_f32 v39, v38, v40 :: v_dual_mul_f32 v58, v33, v19
	v_sub_f32_e32 v40, v57, v61
	v_mul_f32_e32 v43, v31, v17
	s_wait_loadcnt 0x0
	v_dual_mul_f32 v59, v32, v19 :: v_dual_mul_f32 v60, v35, v46
	v_dual_mul_f32 v61, v34, v46 :: v_dual_fmac_f32 v56, v31, v16
	v_fma_f32 v62, v36, 2.0, -v41
	v_fma_f32 v36, v38, 2.0, -v39
	v_sub_f32_e32 v38, v41, v40
	v_fma_f32 v30, v30, v16, -v43
	v_fma_f32 v31, v32, v18, -v58
	s_delay_alu instid0(VALU_DEP_4)
	v_dual_fmac_f32 v59, v33, v18 :: v_dual_sub_f32 v36, v62, v36
	v_fma_f32 v32, v34, v45, -v60
	v_fmac_f32_e32 v61, v35, v45
	v_fma_f32 v37, v57, 2.0, -v40
	v_sub_f32_e32 v40, v28, v31
	v_sub_f32_e32 v43, v29, v59
	;; [unrolled: 1-line block ×4, first 2 shown]
	v_fma_f32 v34, v41, 2.0, -v38
	v_fma_f32 v41, v28, 2.0, -v40
	;; [unrolled: 1-line block ×5, first 2 shown]
	v_dual_add_f32 v39, v42, v39 :: v_dual_sub_f32 v30, v40, v33
	s_delay_alu instid0(VALU_DEP_3) | instskip(NEXT) | instid1(VALU_DEP_3)
	v_dual_sub_f32 v37, v63, v37 :: v_dual_sub_f32 v28, v41, v28
	v_sub_f32_e32 v29, v57, v29
	v_add_f32_e32 v31, v43, v31
	s_delay_alu instid0(VALU_DEP_4)
	v_fma_f32 v35, v42, 2.0, -v39
	v_fma_f32 v32, v62, 2.0, -v36
	;; [unrolled: 1-line block ×7, first 2 shown]
	ds_store_2addr_b64 v50, v[32:33], v[34:35] offset1:245
	ds_store_2addr_b64 v55, v[36:37], v[38:39] offset0:10 offset1:255
	s_and_saveexec_b32 s1, s0
	s_cbranch_execz .LBB0_15
; %bb.14:
	v_add_nc_u32_e32 v55, 0x600, v50
	v_add_nc_u32_e32 v56, 0x1540, v50
	ds_store_2addr_b64 v55, v[40:41], v[42:43] offset0:4 offset1:249
	ds_store_2addr_b64 v56, v[28:29], v[30:31] offset0:6 offset1:251
.LBB0_15:
	s_wait_alu 0xfffe
	s_or_b32 exec_lo, exec_lo, s1
	global_wb scope:SCOPE_SE
	s_wait_dscnt 0x0
	s_barrier_signal -1
	s_barrier_wait -1
	global_inv scope:SCOPE_SE
	s_and_saveexec_b32 s1, vcc_lo
	s_cbranch_execz .LBB0_17
; %bb.16:
	global_load_b64 v[55:56], v50, s[12:13] offset:7840
	s_add_nc_u64 s[2:3], s[12:13], 0x1ea0
	s_clause 0x5
	global_load_b64 v[67:68], v50, s[2:3] offset:1120
	global_load_b64 v[69:70], v50, s[2:3] offset:2240
	global_load_b64 v[71:72], v50, s[2:3] offset:3360
	global_load_b64 v[73:74], v50, s[2:3] offset:4480
	global_load_b64 v[75:76], v50, s[2:3] offset:5600
	global_load_b64 v[77:78], v50, s[2:3] offset:6720
	ds_load_b64 v[57:58], v50
	v_add_nc_u32_e32 v80, 0x400, v50
	v_add_nc_u32_e32 v81, 0xc00, v50
	s_wait_loadcnt_dscnt 0x600
	v_mul_f32_e32 v59, v58, v56
	v_mul_f32_e32 v60, v57, v56
	s_delay_alu instid0(VALU_DEP_2) | instskip(NEXT) | instid1(VALU_DEP_2)
	v_fma_f32 v59, v57, v55, -v59
	v_fmac_f32_e32 v60, v58, v55
	ds_store_b64 v50, v[59:60]
	ds_load_2addr_b64 v[55:58], v80 offset0:12 offset1:152
	s_wait_loadcnt_dscnt 0x500
	v_dual_mul_f32 v79, v55, v68 :: v_dual_add_nc_u32 v82, 0x1400, v50
	ds_load_2addr_b64 v[59:62], v81 offset0:36 offset1:176
	ds_load_2addr_b64 v[63:66], v82 offset0:60 offset1:200
	s_wait_loadcnt 0x4
	v_dual_mul_f32 v83, v56, v68 :: v_dual_mul_f32 v84, v58, v70
	v_dual_mul_f32 v68, v57, v70 :: v_dual_fmac_f32 v79, v56, v67
	s_wait_loadcnt_dscnt 0x301
	v_mul_f32_e32 v85, v60, v72
	s_wait_loadcnt_dscnt 0x100
	v_mul_f32_e32 v87, v64, v76
	v_mul_f32_e32 v70, v59, v72
	;; [unrolled: 1-line block ×5, first 2 shown]
	s_wait_loadcnt 0x0
	v_mul_f32_e32 v88, v66, v78
	v_mul_f32_e32 v76, v65, v78
	v_fma_f32 v78, v55, v67, -v83
	v_fma_f32 v67, v57, v69, -v84
	v_fmac_f32_e32 v68, v58, v69
	v_fma_f32 v69, v59, v71, -v85
	v_fmac_f32_e32 v70, v60, v71
	;; [unrolled: 2-line block ×5, first 2 shown]
	ds_store_2addr_b64 v80, v[78:79], v[67:68] offset0:12 offset1:152
	ds_store_2addr_b64 v81, v[69:70], v[71:72] offset0:36 offset1:176
	;; [unrolled: 1-line block ×3, first 2 shown]
.LBB0_17:
	s_wait_alu 0xfffe
	s_or_b32 exec_lo, exec_lo, s1
	global_wb scope:SCOPE_SE
	s_wait_dscnt 0x0
	s_barrier_signal -1
	s_barrier_wait -1
	global_inv scope:SCOPE_SE
	s_and_saveexec_b32 s1, vcc_lo
	s_cbranch_execz .LBB0_19
; %bb.18:
	v_add_nc_u32_e32 v28, 0x800, v50
	v_add_nc_u32_e32 v29, 0x1000, v50
	ds_load_2addr_b64 v[32:35], v50 offset1:140
	ds_load_2addr_b64 v[36:39], v28 offset0:24 offset1:164
	ds_load_2addr_b64 v[40:43], v29 offset0:48 offset1:188
	ds_load_b64 v[28:29], v50 offset:6720
.LBB0_19:
	s_wait_alu 0xfffe
	s_or_b32 exec_lo, exec_lo, s1
	s_wait_dscnt 0x0
	v_dual_add_f32 v55, v28, v34 :: v_dual_add_f32 v56, v29, v35
	v_dual_sub_f32 v28, v34, v28 :: v_dual_sub_f32 v29, v35, v29
	v_dual_add_f32 v34, v42, v36 :: v_dual_add_f32 v35, v43, v37
	v_dual_sub_f32 v42, v36, v42 :: v_dual_sub_f32 v43, v37, v43
	;; [unrolled: 2-line block ×3, first 2 shown]
	s_delay_alu instid0(VALU_DEP_4) | instskip(SKIP_1) | instid1(VALU_DEP_4)
	v_dual_add_f32 v40, v34, v55 :: v_dual_add_f32 v59, v35, v56
	v_dual_sub_f32 v36, v34, v55 :: v_dual_sub_f32 v37, v35, v56
	v_dual_sub_f32 v55, v55, v57 :: v_dual_sub_f32 v60, v56, v58
	;; [unrolled: 1-line block ×3, first 2 shown]
	v_dual_add_f32 v34, v38, v42 :: v_dual_add_f32 v35, v39, v43
	v_dual_sub_f32 v61, v38, v42 :: v_dual_sub_f32 v62, v39, v43
	v_dual_sub_f32 v67, v28, v38 :: v_dual_sub_f32 v68, v29, v39
	v_dual_add_f32 v39, v57, v40 :: v_dual_add_f32 v40, v58, v59
	s_delay_alu instid0(VALU_DEP_4) | instskip(SKIP_1) | instid1(VALU_DEP_3)
	v_dual_sub_f32 v38, v42, v28 :: v_dual_add_f32 v59, v35, v29
	v_sub_f32_e32 v42, v43, v29
	v_dual_add_f32 v32, v32, v39 :: v_dual_mul_f32 v29, 0x3f4a47b2, v60
	s_delay_alu instid0(VALU_DEP_4) | instskip(SKIP_2) | instid1(VALU_DEP_4)
	v_add_f32_e32 v33, v33, v40
	v_dual_add_f32 v64, v34, v28 :: v_dual_mul_f32 v65, 0x3f08b237, v61
	v_mul_f32_e32 v61, 0x3f08b237, v62
	v_fmamk_f32 v35, v56, 0x3d64c772, v29
	s_delay_alu instid0(VALU_DEP_4)
	v_fmamk_f32 v62, v40, 0xbf955555, v33
	v_fma_f32 v29, 0xbf3bfb3b, v37, -v29
	v_mul_f32_e32 v28, 0x3f4a47b2, v55
	v_mul_f32_e32 v63, 0xbf5ff5aa, v42
	global_wb scope:SCOPE_SE
	v_add_f32_e32 v57, v35, v62
	v_add_f32_e32 v60, v29, v62
	v_mul_f32_e32 v66, 0xbf5ff5aa, v38
	v_fmamk_f32 v38, v67, 0xbeae86e6, v65
	v_fma_f32 v40, 0x3eae86e6, v68, -v63
	s_barrier_signal -1
	s_barrier_wait -1
	v_fma_f32 v55, 0x3eae86e6, v67, -v66
	v_fmac_f32_e32 v38, 0xbee1c552, v64
	v_fmamk_f32 v58, v39, 0xbf955555, v32
	v_fmac_f32_e32 v40, 0xbee1c552, v59
	global_inv scope:SCOPE_SE
	v_fmac_f32_e32 v55, 0xbee1c552, v64
	v_dual_add_f32 v29, v38, v57 :: v_dual_fmamk_f32 v34, v41, 0x3d64c772, v28
	v_fma_f32 v28, 0xbf3bfb3b, v36, -v28
	s_delay_alu instid0(VALU_DEP_3) | instskip(NEXT) | instid1(VALU_DEP_2)
	v_add_f32_e32 v35, v55, v60
	v_add_f32_e32 v43, v28, v58
	s_delay_alu instid0(VALU_DEP_4) | instskip(NEXT) | instid1(VALU_DEP_2)
	v_add_f32_e32 v42, v34, v58
	v_dual_sub_f32 v34, v43, v40 :: v_dual_fmamk_f32 v39, v68, 0xbeae86e6, v61
	s_delay_alu instid0(VALU_DEP_1) | instskip(NEXT) | instid1(VALU_DEP_1)
	v_fmac_f32_e32 v39, 0xbee1c552, v59
	v_sub_f32_e32 v28, v42, v39
	s_and_saveexec_b32 s1, vcc_lo
	s_cbranch_execz .LBB0_21
; %bb.20:
	v_dual_mul_f32 v56, 0x3d64c772, v56 :: v_dual_mul_f32 v41, 0x3d64c772, v41
	v_dual_mul_f32 v37, 0x3f3bfb3b, v37 :: v_dual_mul_f32 v36, 0x3f3bfb3b, v36
	v_dual_mul_f32 v64, 0xbee1c552, v64 :: v_dual_sub_f32 v65, v66, v65
	v_dual_add_f32 v40, v40, v43 :: v_dual_and_b32 v53, 0xffff, v53
	s_delay_alu instid0(VALU_DEP_3) | instskip(NEXT) | instid1(VALU_DEP_4)
	v_dual_sub_f32 v37, v37, v56 :: v_dual_mul_f32 v56, 0xbee1c552, v59
	v_sub_f32_e32 v36, v36, v41
	v_sub_f32_e32 v59, v63, v61
	v_add_f32_e32 v41, v64, v65
	s_delay_alu instid0(VALU_DEP_4) | instskip(NEXT) | instid1(VALU_DEP_4)
	v_add_f32_e32 v61, v37, v62
	v_add_f32_e32 v36, v36, v58
	s_delay_alu instid0(VALU_DEP_4) | instskip(SKIP_1) | instid1(VALU_DEP_4)
	v_add_f32_e32 v62, v56, v59
	v_sub_f32_e32 v56, v57, v38
	v_sub_f32_e32 v37, v61, v41
	v_add_f32_e32 v59, v41, v61
	v_dual_sub_f32 v41, v60, v55 :: v_dual_lshlrev_b32 v38, 3, v53
	v_dual_add_f32 v55, v42, v39 :: v_dual_sub_f32 v58, v36, v62
	v_add_f32_e32 v36, v62, v36
	ds_store_2addr_b64 v38, v[32:33], v[55:56] offset1:1
	ds_store_2addr_b64 v38, v[40:41], v[58:59] offset0:2 offset1:3
	ds_store_2addr_b64 v38, v[36:37], v[34:35] offset0:4 offset1:5
	ds_store_b64 v38, v[28:29] offset:48
.LBB0_21:
	s_wait_alu 0xfffe
	s_or_b32 exec_lo, exec_lo, s1
	global_wb scope:SCOPE_SE
	s_wait_dscnt 0x0
	s_barrier_signal -1
	s_barrier_wait -1
	global_inv scope:SCOPE_SE
	ds_load_2addr_b64 v[36:39], v50 offset1:196
	s_wait_dscnt 0x0
	v_dual_mul_f32 v53, v5, v39 :: v_dual_add_nc_u32 v40, 0xc00, v50
	ds_load_b64 v[32:33], v50 offset:6272
	ds_load_2addr_b64 v[40:43], v40 offset0:8 offset1:204
	v_mul_f32_e32 v5, v5, v38
	global_wb scope:SCOPE_SE
	s_wait_dscnt 0x0
	s_barrier_signal -1
	v_fmac_f32_e32 v53, v4, v38
	s_barrier_wait -1
	v_fma_f32 v38, v4, v39, -v5
	global_inv scope:SCOPE_SE
	v_mul_f32_e32 v55, v3, v33
	v_mul_f32_e32 v5, v7, v41
	;; [unrolled: 1-line block ×4, first 2 shown]
	s_delay_alu instid0(VALU_DEP_3) | instskip(SKIP_1) | instid1(VALU_DEP_4)
	v_fmac_f32_e32 v5, v6, v40
	v_mul_f32_e32 v7, v1, v43
	v_fma_f32 v40, v6, v41, -v4
	v_add_f32_e32 v4, v37, v38
	v_mul_f32_e32 v1, v1, v42
	s_delay_alu instid0(VALU_DEP_4) | instskip(NEXT) | instid1(VALU_DEP_3)
	v_fmac_f32_e32 v7, v0, v42
	v_add_f32_e32 v56, v4, v40
	s_delay_alu instid0(VALU_DEP_3) | instskip(NEXT) | instid1(VALU_DEP_3)
	v_fma_f32 v1, v0, v43, -v1
	v_dual_fmac_f32 v55, v2, v32 :: v_dual_add_f32 v32, v5, v7
	v_add_f32_e32 v0, v36, v53
	v_fma_f32 v39, v2, v33, -v3
	s_delay_alu instid0(VALU_DEP_4) | instskip(NEXT) | instid1(VALU_DEP_4)
	v_sub_f32_e32 v42, v40, v1
	v_add_f32_e32 v2, v53, v55
	v_fma_f32 v32, -0.5, v32, v36
	v_add_f32_e32 v0, v0, v5
	s_delay_alu instid0(VALU_DEP_3) | instskip(SKIP_2) | instid1(VALU_DEP_4)
	v_fma_f32 v6, -0.5, v2, v36
	v_sub_f32_e32 v3, v38, v39
	v_sub_f32_e32 v41, v53, v55
	v_add_f32_e32 v0, v0, v7
	v_sub_f32_e32 v2, v5, v53
	v_dual_fmamk_f32 v4, v42, 0x3f737871, v6 :: v_dual_sub_f32 v43, v55, v7
	v_dual_fmac_f32 v6, 0xbf737871, v42 :: v_dual_sub_f32 v33, v53, v5
	v_sub_f32_e32 v53, v7, v55
	s_delay_alu instid0(VALU_DEP_3) | instskip(NEXT) | instid1(VALU_DEP_2)
	v_dual_add_f32 v57, v40, v1 :: v_dual_fmac_f32 v4, 0xbf167918, v3
	v_dual_add_f32 v36, v33, v43 :: v_dual_add_f32 v43, v2, v53
	v_fmamk_f32 v2, v3, 0xbf737871, v32
	v_fmac_f32_e32 v32, 0x3f737871, v3
	s_delay_alu instid0(VALU_DEP_4) | instskip(SKIP_1) | instid1(VALU_DEP_4)
	v_fma_f32 v33, -0.5, v57, v37
	v_add_f32_e32 v0, v0, v55
	v_fmac_f32_e32 v2, 0xbf167918, v42
	s_delay_alu instid0(VALU_DEP_4)
	v_fmac_f32_e32 v32, 0x3f167918, v42
	v_sub_f32_e32 v42, v5, v7
	v_fmac_f32_e32 v6, 0x3f167918, v3
	v_fmamk_f32 v3, v41, 0x3f737871, v33
	v_fmac_f32_e32 v2, 0x3e9e377a, v36
	v_fmac_f32_e32 v32, 0x3e9e377a, v36
	v_dual_add_f32 v36, v38, v39 :: v_dual_fmac_f32 v33, 0xbf737871, v41
	s_delay_alu instid0(VALU_DEP_1) | instskip(SKIP_1) | instid1(VALU_DEP_2)
	v_fma_f32 v7, -0.5, v36, v37
	v_sub_f32_e32 v37, v39, v1
	v_fmamk_f32 v5, v42, 0xbf737871, v7
	s_delay_alu instid0(VALU_DEP_1)
	v_dual_fmac_f32 v5, 0x3f167918, v41 :: v_dual_sub_f32 v36, v38, v40
	v_fmac_f32_e32 v7, 0x3f737871, v42
	v_fmac_f32_e32 v3, 0x3f167918, v42
	v_sub_f32_e32 v38, v40, v38
	v_fmac_f32_e32 v4, 0x3e9e377a, v43
	v_dual_add_f32 v36, v36, v37 :: v_dual_fmac_f32 v33, 0xbf167918, v42
	v_dual_fmac_f32 v6, 0x3e9e377a, v43 :: v_dual_add_f32 v43, v56, v1
	v_sub_f32_e32 v1, v1, v39
	s_delay_alu instid0(VALU_DEP_3) | instskip(SKIP_2) | instid1(VALU_DEP_4)
	v_fmac_f32_e32 v3, 0x3e9e377a, v36
	v_fmac_f32_e32 v7, 0xbf167918, v41
	;; [unrolled: 1-line block ×3, first 2 shown]
	v_add_f32_e32 v37, v38, v1
	v_add_f32_e32 v1, v43, v39
	s_delay_alu instid0(VALU_DEP_2)
	v_fmac_f32_e32 v5, 0x3e9e377a, v37
	v_fmac_f32_e32 v7, 0x3e9e377a, v37
	ds_store_2addr_b64 v52, v[0:1], v[2:3] offset1:7
	ds_store_2addr_b64 v52, v[4:5], v[6:7] offset0:14 offset1:21
	ds_store_b64 v52, v[32:33] offset:224
	global_wb scope:SCOPE_SE
	s_wait_dscnt 0x0
	s_barrier_signal -1
	s_barrier_wait -1
	global_inv scope:SCOPE_SE
	s_and_saveexec_b32 s1, vcc_lo
	s_cbranch_execz .LBB0_23
; %bb.22:
	v_add_nc_u32_e32 v4, 0x800, v50
	v_add_nc_u32_e32 v28, 0x1000, v50
	ds_load_2addr_b64 v[0:3], v50 offset1:140
	ds_load_2addr_b64 v[4:7], v4 offset0:24 offset1:164
	ds_load_2addr_b64 v[32:35], v28 offset0:48 offset1:188
	ds_load_b64 v[28:29], v50 offset:6720
.LBB0_23:
	s_wait_alu 0xfffe
	s_or_b32 exec_lo, exec_lo, s1
	s_wait_dscnt 0x2
	v_dual_mul_f32 v36, v21, v3 :: v_dual_mul_f32 v37, v23, v5
	v_mul_f32_e32 v21, v21, v2
	v_mul_f32_e32 v23, v23, v4
	global_wb scope:SCOPE_SE
	s_wait_dscnt 0x0
	v_dual_fmac_f32 v36, v20, v2 :: v_dual_fmac_f32 v37, v22, v4
	v_fma_f32 v2, v20, v3, -v21
	v_dual_mul_f32 v20, v15, v33 :: v_dual_mul_f32 v3, v13, v7
	v_mul_f32_e32 v13, v13, v6
	v_fma_f32 v4, v22, v5, -v23
	s_barrier_signal -1
	s_delay_alu instid0(VALU_DEP_3) | instskip(SKIP_4) | instid1(VALU_DEP_3)
	v_dual_fmac_f32 v20, v14, v32 :: v_dual_fmac_f32 v3, v12, v6
	v_mul_f32_e32 v6, v11, v29
	v_fma_f32 v5, v12, v7, -v13
	v_dual_mul_f32 v12, v9, v35 :: v_dual_mul_f32 v7, v11, v28
	s_barrier_wait -1
	v_fmac_f32_e32 v6, v10, v28
	s_delay_alu instid0(VALU_DEP_2) | instskip(NEXT) | instid1(VALU_DEP_3)
	v_dual_mul_f32 v11, v15, v32 :: v_dual_fmac_f32 v12, v8, v34
	v_fma_f32 v7, v10, v29, -v7
	v_mul_f32_e32 v9, v9, v34
	global_inv scope:SCOPE_SE
	v_fma_f32 v8, v8, v35, -v9
	v_dual_add_f32 v9, v6, v36 :: v_dual_sub_f32 v6, v36, v6
	v_fma_f32 v10, v14, v33, -v11
	v_dual_add_f32 v11, v7, v2 :: v_dual_sub_f32 v2, v2, v7
	v_add_f32_e32 v7, v12, v37
	v_add_f32_e32 v13, v8, v4
	v_sub_f32_e32 v12, v37, v12
	v_sub_f32_e32 v4, v4, v8
	v_add_f32_e32 v8, v3, v20
	v_dual_add_f32 v14, v5, v10 :: v_dual_sub_f32 v5, v10, v5
	v_dual_sub_f32 v3, v20, v3 :: v_dual_sub_f32 v20, v7, v9
	v_dual_add_f32 v10, v7, v9 :: v_dual_add_f32 v15, v13, v11
	s_delay_alu instid0(VALU_DEP_2) | instskip(NEXT) | instid1(VALU_DEP_4)
	v_dual_sub_f32 v21, v13, v11 :: v_dual_sub_f32 v28, v3, v12
	v_dual_sub_f32 v9, v9, v8 :: v_dual_sub_f32 v32, v2, v5
	v_add_f32_e32 v22, v3, v12
	v_sub_f32_e32 v11, v11, v14
	v_sub_f32_e32 v7, v8, v7
	v_dual_add_f32 v23, v5, v4 :: v_dual_add_f32 v8, v8, v10
	v_add_f32_e32 v10, v14, v15
	v_dual_sub_f32 v13, v14, v13 :: v_dual_sub_f32 v12, v12, v6
	v_dual_sub_f32 v29, v5, v4 :: v_dual_sub_f32 v14, v4, v2
	s_delay_alu instid0(VALU_DEP_3)
	v_dual_add_f32 v4, v0, v8 :: v_dual_add_f32 v5, v1, v10
	v_dual_mul_f32 v0, 0x3f4a47b2, v9 :: v_dual_mul_f32 v1, 0x3f4a47b2, v11
	v_dual_sub_f32 v3, v6, v3 :: v_dual_add_f32 v2, v23, v2
	v_add_f32_e32 v22, v22, v6
	v_dual_mul_f32 v6, 0x3d64c772, v7 :: v_dual_mul_f32 v9, 0x3d64c772, v13
	v_dual_fmamk_f32 v33, v8, 0xbf955555, v4 :: v_dual_fmamk_f32 v34, v10, 0xbf955555, v5
	v_fmamk_f32 v13, v13, 0x3d64c772, v1
	v_mul_f32_e32 v11, 0x3f08b237, v28
	v_mul_f32_e32 v28, 0xbf5ff5aa, v12
	v_fma_f32 v1, 0xbf3bfb3b, v21, -v1
	v_mul_f32_e32 v23, 0x3f08b237, v29
	v_mul_f32_e32 v29, 0xbf5ff5aa, v14
	v_fma_f32 v36, 0x3f3bfb3b, v20, -v6
	v_fmamk_f32 v35, v7, 0x3d64c772, v0
	v_fma_f32 v37, 0x3f3bfb3b, v21, -v9
	v_fma_f32 v0, 0xbf3bfb3b, v20, -v0
	;; [unrolled: 1-line block ×3, first 2 shown]
	v_add_f32_e32 v20, v1, v34
	v_fma_f32 v10, 0xbf5ff5aa, v14, -v23
	v_add_f32_e32 v14, v36, v33
	v_fma_f32 v15, 0xbf5ff5aa, v12, -v11
	v_add_f32_e32 v12, v13, v34
	v_dual_fmamk_f32 v6, v3, 0xbeae86e6, v11 :: v_dual_add_f32 v21, v37, v34
	v_fma_f32 v11, 0x3eae86e6, v3, -v28
	v_dual_add_f32 v13, v0, v33 :: v_dual_fmac_f32 v10, 0xbee1c552, v2
	v_fmac_f32_e32 v8, 0xbee1c552, v2
	v_fmamk_f32 v7, v32, 0xbeae86e6, v23
	v_dual_add_f32 v9, v35, v33 :: v_dual_fmac_f32 v6, 0xbee1c552, v22
	v_fmac_f32_e32 v11, 0xbee1c552, v22
	v_add_f32_e32 v0, v10, v14
	s_delay_alu instid0(VALU_DEP_4) | instskip(SKIP_2) | instid1(VALU_DEP_3)
	v_fmac_f32_e32 v7, 0xbee1c552, v2
	v_fmac_f32_e32 v15, 0xbee1c552, v22
	v_add_f32_e32 v29, v6, v12
	v_dual_add_f32 v3, v11, v20 :: v_dual_sub_f32 v28, v9, v7
	s_delay_alu instid0(VALU_DEP_3)
	v_sub_f32_e32 v1, v21, v15
	v_sub_f32_e32 v2, v13, v8
	s_and_saveexec_b32 s1, vcc_lo
	s_cbranch_execz .LBB0_25
; %bb.24:
	v_dual_add_f32 v15, v15, v21 :: v_dual_sub_f32 v14, v14, v10
	v_mul_u32_u24_e32 v21, 0xf5, v54
	v_dual_sub_f32 v10, v20, v11 :: v_dual_add_f32 v11, v7, v9
	v_sub_f32_e32 v12, v12, v6
	v_add_f32_e32 v9, v8, v13
	s_delay_alu instid0(VALU_DEP_4)
	v_add_lshl_u32 v6, v21, v51, 3
	ds_store_2addr_b64 v6, v[4:5], v[11:12] offset1:35
	ds_store_2addr_b64 v6, v[9:10], v[14:15] offset0:70 offset1:105
	ds_store_2addr_b64 v6, v[0:1], v[2:3] offset0:140 offset1:175
	ds_store_b64 v6, v[28:29] offset:1680
.LBB0_25:
	s_wait_alu 0xfffe
	s_or_b32 exec_lo, exec_lo, s1
	v_add_nc_u32_e32 v12, 0xf00, v50
	global_wb scope:SCOPE_SE
	s_wait_dscnt 0x0
	s_barrier_signal -1
	s_barrier_wait -1
	global_inv scope:SCOPE_SE
	ds_load_2addr_b64 v[4:7], v50 offset1:245
	ds_load_2addr_b64 v[8:11], v12 offset0:10 offset1:255
	s_and_saveexec_b32 s1, s0
	s_cbranch_execz .LBB0_27
; %bb.26:
	v_add_nc_u32_e32 v0, 0x600, v50
	v_add_nc_u32_e32 v13, 0x1540, v50
	ds_load_2addr_b64 v[0:3], v0 offset0:4 offset1:249
	ds_load_2addr_b64 v[28:31], v13 offset0:6 offset1:251
.LBB0_27:
	s_wait_alu 0xfffe
	s_or_b32 exec_lo, exec_lo, s1
	s_wait_dscnt 0x0
	v_dual_mul_f32 v14, v25, v6 :: v_dual_mul_f32 v15, v27, v9
	v_dual_mul_f32 v13, v25, v7 :: v_dual_mul_f32 v20, v27, v8
	s_delay_alu instid0(VALU_DEP_2) | instskip(NEXT) | instid1(VALU_DEP_3)
	v_fma_f32 v7, v24, v7, -v14
	v_fmac_f32_e32 v15, v26, v8
	s_delay_alu instid0(VALU_DEP_3) | instskip(NEXT) | instid1(VALU_DEP_2)
	v_fma_f32 v8, v26, v9, -v20
	v_sub_f32_e32 v9, v4, v15
	s_delay_alu instid0(VALU_DEP_1) | instskip(SKIP_2) | instid1(VALU_DEP_1)
	v_fma_f32 v14, v4, 2.0, -v9
	v_fmac_f32_e32 v13, v24, v6
	v_mul_f32_e32 v6, v48, v10
	v_fma_f32 v6, v47, v11, -v6
	v_mul_f32_e32 v21, v48, v11
	s_delay_alu instid0(VALU_DEP_2) | instskip(NEXT) | instid1(VALU_DEP_2)
	v_dual_sub_f32 v11, v5, v8 :: v_dual_sub_f32 v6, v7, v6
	v_fmac_f32_e32 v21, v47, v10
	s_delay_alu instid0(VALU_DEP_2) | instskip(NEXT) | instid1(VALU_DEP_2)
	v_fma_f32 v7, v7, 2.0, -v6
	v_sub_f32_e32 v10, v13, v21
	v_add_f32_e32 v4, v9, v6
	s_delay_alu instid0(VALU_DEP_2) | instskip(SKIP_1) | instid1(VALU_DEP_2)
	v_fma_f32 v8, v13, 2.0, -v10
	v_fma_f32 v13, v5, 2.0, -v11
	v_dual_sub_f32 v5, v11, v10 :: v_dual_sub_f32 v6, v14, v8
	s_delay_alu instid0(VALU_DEP_2) | instskip(SKIP_1) | instid1(VALU_DEP_3)
	v_sub_f32_e32 v7, v13, v7
	v_fma_f32 v8, v9, 2.0, -v4
	v_fma_f32 v9, v11, 2.0, -v5
	s_delay_alu instid0(VALU_DEP_4) | instskip(NEXT) | instid1(VALU_DEP_4)
	v_fma_f32 v10, v14, 2.0, -v6
	v_fma_f32 v11, v13, 2.0, -v7
	ds_store_2addr_b64 v50, v[10:11], v[8:9] offset1:245
	ds_store_2addr_b64 v12, v[6:7], v[4:5] offset0:10 offset1:255
	s_and_saveexec_b32 s1, s0
	s_cbranch_execz .LBB0_29
; %bb.28:
	v_dual_mul_f32 v4, v19, v28 :: v_dual_mul_f32 v5, v17, v3
	v_dual_mul_f32 v6, v19, v29 :: v_dual_mul_f32 v7, v17, v2
	s_delay_alu instid0(VALU_DEP_2) | instskip(SKIP_1) | instid1(VALU_DEP_3)
	v_fma_f32 v4, v18, v29, -v4
	v_mul_f32_e32 v9, v46, v31
	v_dual_fmac_f32 v5, v16, v2 :: v_dual_fmac_f32 v6, v18, v28
	s_delay_alu instid0(VALU_DEP_4) | instskip(NEXT) | instid1(VALU_DEP_4)
	v_fma_f32 v2, v16, v3, -v7
	v_sub_f32_e32 v4, v1, v4
	s_delay_alu instid0(VALU_DEP_3) | instskip(SKIP_1) | instid1(VALU_DEP_1)
	v_sub_f32_e32 v6, v0, v6
	v_fmac_f32_e32 v9, v45, v30
	v_dual_mul_f32 v8, v46, v30 :: v_dual_sub_f32 v7, v5, v9
	s_delay_alu instid0(VALU_DEP_1) | instskip(NEXT) | instid1(VALU_DEP_4)
	v_fma_f32 v3, v45, v31, -v8
	v_fma_f32 v9, v0, 2.0, -v6
	v_fma_f32 v8, v1, 2.0, -v4
	s_delay_alu instid0(VALU_DEP_4) | instskip(NEXT) | instid1(VALU_DEP_4)
	v_fma_f32 v5, v5, 2.0, -v7
	v_sub_f32_e32 v3, v2, v3
	v_sub_f32_e32 v1, v4, v7
	s_delay_alu instid0(VALU_DEP_2) | instskip(NEXT) | instid1(VALU_DEP_1)
	v_fma_f32 v2, v2, 2.0, -v3
	v_dual_add_f32 v0, v6, v3 :: v_dual_sub_f32 v3, v8, v2
	v_sub_f32_e32 v2, v9, v5
	s_delay_alu instid0(VALU_DEP_2)
	v_fma_f32 v7, v8, 2.0, -v3
	v_add_nc_u32_e32 v8, 0x600, v50
	v_fma_f32 v5, v4, 2.0, -v1
	v_fma_f32 v4, v6, 2.0, -v0
	v_fma_f32 v6, v9, 2.0, -v2
	v_add_nc_u32_e32 v9, 0x1540, v50
	ds_store_2addr_b64 v8, v[6:7], v[4:5] offset0:4 offset1:249
	ds_store_2addr_b64 v9, v[2:3], v[0:1] offset0:6 offset1:251
.LBB0_29:
	s_wait_alu 0xfffe
	s_or_b32 exec_lo, exec_lo, s1
	global_wb scope:SCOPE_SE
	s_wait_dscnt 0x0
	s_barrier_signal -1
	s_barrier_wait -1
	global_inv scope:SCOPE_SE
	s_and_b32 exec_lo, exec_lo, vcc_lo
	s_cbranch_execz .LBB0_31
; %bb.30:
	s_clause 0x6
	global_load_b64 v[12:13], v50, s[12:13]
	global_load_b64 v[14:15], v50, s[12:13] offset:1120
	global_load_b64 v[16:17], v50, s[12:13] offset:2240
	;; [unrolled: 1-line block ×6, first 2 shown]
	ds_load_b64 v[26:27], v50
	v_add_nc_u32_e32 v0, 0x400, v50
	s_mov_b32 s0, 0xec259dc8
	s_mov_b32 s1, 0x3f50b7e6
	s_wait_loadcnt_dscnt 0x600
	v_mul_f32_e32 v28, v27, v13
	v_mul_f32_e32 v13, v26, v13
	ds_load_2addr_b64 v[0:3], v0 offset0:12 offset1:152
	v_add_nc_u32_e32 v4, 0xc00, v50
	s_wait_loadcnt_dscnt 0x500
	v_dual_mul_f32 v29, v1, v15 :: v_dual_add_nc_u32 v8, 0x1400, v50
	v_mul_f32_e32 v15, v0, v15
	ds_load_2addr_b64 v[4:7], v4 offset0:36 offset1:176
	ds_load_2addr_b64 v[8:11], v8 offset0:60 offset1:200
	s_wait_loadcnt 0x4
	v_mul_f32_e32 v30, v3, v17
	v_mul_f32_e32 v17, v2, v17
	v_fmac_f32_e32 v29, v0, v14
	s_wait_loadcnt_dscnt 0x301
	v_mul_f32_e32 v31, v5, v19
	s_wait_loadcnt 0x2
	v_dual_mul_f32 v19, v4, v19 :: v_dual_mul_f32 v32, v7, v21
	s_wait_loadcnt_dscnt 0x100
	v_mul_f32_e32 v33, v9, v23
	v_mul_f32_e32 v21, v6, v21
	s_wait_loadcnt 0x0
	v_dual_mul_f32 v23, v8, v23 :: v_dual_mul_f32 v34, v11, v25
	v_fmac_f32_e32 v28, v26, v12
	v_fma_f32 v12, v12, v27, -v13
	v_fma_f32 v13, v14, v1, -v15
	v_dual_fmac_f32 v30, v2, v16 :: v_dual_fmac_f32 v31, v4, v18
	v_fma_f32 v14, v16, v3, -v17
	v_fma_f32 v15, v18, v5, -v19
	v_dual_fmac_f32 v32, v6, v20 :: v_dual_fmac_f32 v33, v8, v22
	v_fma_f32 v18, v20, v7, -v21
	v_fma_f32 v22, v22, v9, -v23
	v_cvt_f64_f32_e32 v[0:1], v28
	v_cvt_f64_f32_e32 v[2:3], v12
	;; [unrolled: 1-line block ×6, first 2 shown]
	v_mad_co_u64_u32 v[28:29], null, s6, v44, 0
	v_mad_co_u64_u32 v[30:31], null, s4, v49, 0
	v_mul_f32_e32 v25, v10, v25
	v_cvt_f64_f32_e32 v[16:17], v32
	v_cvt_f64_f32_e32 v[20:21], v33
	;; [unrolled: 1-line block ×4, first 2 shown]
	v_fma_f32 v26, v24, v11, -v25
	v_mad_co_u64_u32 v[32:33], null, s7, v44, v[29:30]
	v_fmac_f32_e32 v34, v10, v24
	v_cvt_f64_f32_e32 v[10:11], v14
	v_cvt_f64_f32_e32 v[14:15], v15
	;; [unrolled: 1-line block ×3, first 2 shown]
	v_mov_b32_e32 v29, v32
	v_cvt_f64_f32_e32 v[24:25], v34
	v_mad_co_u64_u32 v[33:34], null, s5, v49, v[31:32]
	s_delay_alu instid0(VALU_DEP_3) | instskip(NEXT) | instid1(VALU_DEP_2)
	v_lshlrev_b64_e32 v[28:29], 3, v[28:29]
	v_mov_b32_e32 v31, v33
	s_delay_alu instid0(VALU_DEP_2) | instskip(NEXT) | instid1(VALU_DEP_3)
	v_add_co_u32 v28, vcc_lo, s8, v28
	v_add_co_ci_u32_e32 v29, vcc_lo, s9, v29, vcc_lo
	s_wait_alu 0xfffe
	v_mul_f64_e32 v[0:1], s[0:1], v[0:1]
	v_mul_f64_e32 v[2:3], s[0:1], v[2:3]
	;; [unrolled: 1-line block ×6, first 2 shown]
	v_lshlrev_b64_e32 v[30:31], 3, v[30:31]
	v_mul_f64_e32 v[16:17], s[0:1], v[16:17]
	v_mul_f64_e32 v[20:21], s[0:1], v[20:21]
	;; [unrolled: 1-line block ×8, first 2 shown]
	s_mul_u64 s[0:1], s[4:5], 0x460
	v_cvt_f32_f64_e32 v0, v[0:1]
	v_cvt_f32_f64_e32 v1, v[2:3]
	v_cvt_f32_f64_e32 v2, v[4:5]
	v_cvt_f32_f64_e32 v3, v[6:7]
	v_cvt_f32_f64_e32 v4, v[8:9]
	v_cvt_f32_f64_e32 v6, v[12:13]
	v_cvt_f32_f64_e32 v8, v[16:17]
	v_cvt_f32_f64_e32 v9, v[18:19]
	v_cvt_f32_f64_e32 v5, v[10:11]
	v_cvt_f32_f64_e32 v7, v[14:15]
	v_cvt_f32_f64_e32 v10, v[20:21]
	v_cvt_f32_f64_e32 v11, v[22:23]
	v_cvt_f32_f64_e32 v13, v[26:27]
	v_add_co_u32 v14, vcc_lo, v28, v30
	v_cvt_f32_f64_e32 v12, v[24:25]
	s_wait_alu 0xfffd
	v_add_co_ci_u32_e32 v15, vcc_lo, v29, v31, vcc_lo
	s_wait_alu 0xfffe
	v_add_co_u32 v16, vcc_lo, v14, s0
	s_wait_alu 0xfffd
	s_delay_alu instid0(VALU_DEP_2) | instskip(NEXT) | instid1(VALU_DEP_2)
	v_add_co_ci_u32_e32 v17, vcc_lo, s1, v15, vcc_lo
	v_add_co_u32 v18, vcc_lo, v16, s0
	s_wait_alu 0xfffd
	s_delay_alu instid0(VALU_DEP_2) | instskip(NEXT) | instid1(VALU_DEP_2)
	v_add_co_ci_u32_e32 v19, vcc_lo, s1, v17, vcc_lo
	;; [unrolled: 4-line block ×5, first 2 shown]
	v_add_co_u32 v26, vcc_lo, v24, s0
	s_wait_alu 0xfffd
	s_delay_alu instid0(VALU_DEP_2)
	v_add_co_ci_u32_e32 v27, vcc_lo, s1, v25, vcc_lo
	s_clause 0x4
	global_store_b64 v[14:15], v[0:1], off
	global_store_b64 v[16:17], v[2:3], off
	;; [unrolled: 1-line block ×7, first 2 shown]
.LBB0_31:
	s_nop 0
	s_sendmsg sendmsg(MSG_DEALLOC_VGPRS)
	s_endpgm
	.section	.rodata,"a",@progbits
	.p2align	6, 0x0
	.amdhsa_kernel bluestein_single_fwd_len980_dim1_sp_op_CI_CI
		.amdhsa_group_segment_fixed_size 7840
		.amdhsa_private_segment_fixed_size 0
		.amdhsa_kernarg_size 104
		.amdhsa_user_sgpr_count 2
		.amdhsa_user_sgpr_dispatch_ptr 0
		.amdhsa_user_sgpr_queue_ptr 0
		.amdhsa_user_sgpr_kernarg_segment_ptr 1
		.amdhsa_user_sgpr_dispatch_id 0
		.amdhsa_user_sgpr_private_segment_size 0
		.amdhsa_wavefront_size32 1
		.amdhsa_uses_dynamic_stack 0
		.amdhsa_enable_private_segment 0
		.amdhsa_system_sgpr_workgroup_id_x 1
		.amdhsa_system_sgpr_workgroup_id_y 0
		.amdhsa_system_sgpr_workgroup_id_z 0
		.amdhsa_system_sgpr_workgroup_info 0
		.amdhsa_system_vgpr_workitem_id 0
		.amdhsa_next_free_vgpr 89
		.amdhsa_next_free_sgpr 14
		.amdhsa_reserve_vcc 1
		.amdhsa_float_round_mode_32 0
		.amdhsa_float_round_mode_16_64 0
		.amdhsa_float_denorm_mode_32 3
		.amdhsa_float_denorm_mode_16_64 3
		.amdhsa_fp16_overflow 0
		.amdhsa_workgroup_processor_mode 1
		.amdhsa_memory_ordered 1
		.amdhsa_forward_progress 0
		.amdhsa_round_robin_scheduling 0
		.amdhsa_exception_fp_ieee_invalid_op 0
		.amdhsa_exception_fp_denorm_src 0
		.amdhsa_exception_fp_ieee_div_zero 0
		.amdhsa_exception_fp_ieee_overflow 0
		.amdhsa_exception_fp_ieee_underflow 0
		.amdhsa_exception_fp_ieee_inexact 0
		.amdhsa_exception_int_div_zero 0
	.end_amdhsa_kernel
	.text
.Lfunc_end0:
	.size	bluestein_single_fwd_len980_dim1_sp_op_CI_CI, .Lfunc_end0-bluestein_single_fwd_len980_dim1_sp_op_CI_CI
                                        ; -- End function
	.section	.AMDGPU.csdata,"",@progbits
; Kernel info:
; codeLenInByte = 7716
; NumSgprs: 16
; NumVgprs: 89
; ScratchSize: 0
; MemoryBound: 0
; FloatMode: 240
; IeeeMode: 1
; LDSByteSize: 7840 bytes/workgroup (compile time only)
; SGPRBlocks: 1
; VGPRBlocks: 11
; NumSGPRsForWavesPerEU: 16
; NumVGPRsForWavesPerEU: 89
; Occupancy: 16
; WaveLimiterHint : 1
; COMPUTE_PGM_RSRC2:SCRATCH_EN: 0
; COMPUTE_PGM_RSRC2:USER_SGPR: 2
; COMPUTE_PGM_RSRC2:TRAP_HANDLER: 0
; COMPUTE_PGM_RSRC2:TGID_X_EN: 1
; COMPUTE_PGM_RSRC2:TGID_Y_EN: 0
; COMPUTE_PGM_RSRC2:TGID_Z_EN: 0
; COMPUTE_PGM_RSRC2:TIDIG_COMP_CNT: 0
	.text
	.p2alignl 7, 3214868480
	.fill 96, 4, 3214868480
	.type	__hip_cuid_d58135d19e7b4c0e,@object ; @__hip_cuid_d58135d19e7b4c0e
	.section	.bss,"aw",@nobits
	.globl	__hip_cuid_d58135d19e7b4c0e
__hip_cuid_d58135d19e7b4c0e:
	.byte	0                               ; 0x0
	.size	__hip_cuid_d58135d19e7b4c0e, 1

	.ident	"AMD clang version 19.0.0git (https://github.com/RadeonOpenCompute/llvm-project roc-6.4.0 25133 c7fe45cf4b819c5991fe208aaa96edf142730f1d)"
	.section	".note.GNU-stack","",@progbits
	.addrsig
	.addrsig_sym __hip_cuid_d58135d19e7b4c0e
	.amdgpu_metadata
---
amdhsa.kernels:
  - .args:
      - .actual_access:  read_only
        .address_space:  global
        .offset:         0
        .size:           8
        .value_kind:     global_buffer
      - .actual_access:  read_only
        .address_space:  global
        .offset:         8
        .size:           8
        .value_kind:     global_buffer
      - .actual_access:  read_only
        .address_space:  global
        .offset:         16
        .size:           8
        .value_kind:     global_buffer
      - .actual_access:  read_only
        .address_space:  global
        .offset:         24
        .size:           8
        .value_kind:     global_buffer
      - .actual_access:  read_only
        .address_space:  global
        .offset:         32
        .size:           8
        .value_kind:     global_buffer
      - .offset:         40
        .size:           8
        .value_kind:     by_value
      - .address_space:  global
        .offset:         48
        .size:           8
        .value_kind:     global_buffer
      - .address_space:  global
        .offset:         56
        .size:           8
        .value_kind:     global_buffer
      - .address_space:  global
        .offset:         64
        .size:           8
        .value_kind:     global_buffer
      - .address_space:  global
        .offset:         72
        .size:           8
        .value_kind:     global_buffer
      - .offset:         80
        .size:           4
        .value_kind:     by_value
      - .address_space:  global
        .offset:         88
        .size:           8
        .value_kind:     global_buffer
      - .address_space:  global
        .offset:         96
        .size:           8
        .value_kind:     global_buffer
    .group_segment_fixed_size: 7840
    .kernarg_segment_align: 8
    .kernarg_segment_size: 104
    .language:       OpenCL C
    .language_version:
      - 2
      - 0
    .max_flat_workgroup_size: 196
    .name:           bluestein_single_fwd_len980_dim1_sp_op_CI_CI
    .private_segment_fixed_size: 0
    .sgpr_count:     16
    .sgpr_spill_count: 0
    .symbol:         bluestein_single_fwd_len980_dim1_sp_op_CI_CI.kd
    .uniform_work_group_size: 1
    .uses_dynamic_stack: false
    .vgpr_count:     89
    .vgpr_spill_count: 0
    .wavefront_size: 32
    .workgroup_processor_mode: 1
amdhsa.target:   amdgcn-amd-amdhsa--gfx1201
amdhsa.version:
  - 1
  - 2
...

	.end_amdgpu_metadata
